;; amdgpu-corpus repo=ROCm/rocFFT kind=compiled arch=gfx1030 opt=O3
	.text
	.amdgcn_target "amdgcn-amd-amdhsa--gfx1030"
	.amdhsa_code_object_version 6
	.protected	fft_rtc_fwd_len1320_factors_11_2_3_5_4_wgs_165_tpt_165_dp_op_CI_CI_unitstride_sbrr_dirReg ; -- Begin function fft_rtc_fwd_len1320_factors_11_2_3_5_4_wgs_165_tpt_165_dp_op_CI_CI_unitstride_sbrr_dirReg
	.globl	fft_rtc_fwd_len1320_factors_11_2_3_5_4_wgs_165_tpt_165_dp_op_CI_CI_unitstride_sbrr_dirReg
	.p2align	8
	.type	fft_rtc_fwd_len1320_factors_11_2_3_5_4_wgs_165_tpt_165_dp_op_CI_CI_unitstride_sbrr_dirReg,@function
fft_rtc_fwd_len1320_factors_11_2_3_5_4_wgs_165_tpt_165_dp_op_CI_CI_unitstride_sbrr_dirReg: ; @fft_rtc_fwd_len1320_factors_11_2_3_5_4_wgs_165_tpt_165_dp_op_CI_CI_unitstride_sbrr_dirReg
; %bb.0:
	s_clause 0x2
	s_load_dwordx4 s[12:15], s[4:5], 0x0
	s_load_dwordx4 s[8:11], s[4:5], 0x58
	;; [unrolled: 1-line block ×3, first 2 shown]
	v_mul_u32_u24_e32 v1, 0x18e, v0
	v_mov_b32_e32 v3, 0
	v_add_nc_u32_sdwa v5, s6, v1 dst_sel:DWORD dst_unused:UNUSED_PAD src0_sel:DWORD src1_sel:WORD_1
	v_mov_b32_e32 v1, 0
	v_mov_b32_e32 v6, v3
	v_mov_b32_e32 v2, 0
	s_waitcnt lgkmcnt(0)
	v_cmp_lt_u64_e64 s0, s[14:15], 2
	s_and_b32 vcc_lo, exec_lo, s0
	s_cbranch_vccnz .LBB0_8
; %bb.1:
	s_load_dwordx2 s[0:1], s[4:5], 0x10
	v_mov_b32_e32 v1, 0
	v_mov_b32_e32 v2, 0
	s_add_u32 s2, s18, 8
	s_addc_u32 s3, s19, 0
	s_add_u32 s6, s16, 8
	s_addc_u32 s7, s17, 0
	v_mov_b32_e32 v53, v2
	v_mov_b32_e32 v52, v1
	s_mov_b64 s[22:23], 1
	s_waitcnt lgkmcnt(0)
	s_add_u32 s20, s0, 8
	s_addc_u32 s21, s1, 0
.LBB0_2:                                ; =>This Inner Loop Header: Depth=1
	s_load_dwordx2 s[24:25], s[20:21], 0x0
                                        ; implicit-def: $vgpr54_vgpr55
	s_mov_b32 s0, exec_lo
	s_waitcnt lgkmcnt(0)
	v_or_b32_e32 v4, s25, v6
	v_cmpx_ne_u64_e32 0, v[3:4]
	s_xor_b32 s1, exec_lo, s0
	s_cbranch_execz .LBB0_4
; %bb.3:                                ;   in Loop: Header=BB0_2 Depth=1
	v_cvt_f32_u32_e32 v4, s24
	v_cvt_f32_u32_e32 v7, s25
	s_sub_u32 s0, 0, s24
	s_subb_u32 s26, 0, s25
	v_fmac_f32_e32 v4, 0x4f800000, v7
	v_rcp_f32_e32 v4, v4
	v_mul_f32_e32 v4, 0x5f7ffffc, v4
	v_mul_f32_e32 v7, 0x2f800000, v4
	v_trunc_f32_e32 v7, v7
	v_fmac_f32_e32 v4, 0xcf800000, v7
	v_cvt_u32_f32_e32 v7, v7
	v_cvt_u32_f32_e32 v4, v4
	v_mul_lo_u32 v8, s0, v7
	v_mul_hi_u32 v9, s0, v4
	v_mul_lo_u32 v10, s26, v4
	v_add_nc_u32_e32 v8, v9, v8
	v_mul_lo_u32 v9, s0, v4
	v_add_nc_u32_e32 v8, v8, v10
	v_mul_hi_u32 v10, v4, v9
	v_mul_lo_u32 v11, v4, v8
	v_mul_hi_u32 v12, v4, v8
	v_mul_hi_u32 v13, v7, v9
	v_mul_lo_u32 v9, v7, v9
	v_mul_hi_u32 v14, v7, v8
	v_mul_lo_u32 v8, v7, v8
	v_add_co_u32 v10, vcc_lo, v10, v11
	v_add_co_ci_u32_e32 v11, vcc_lo, 0, v12, vcc_lo
	v_add_co_u32 v9, vcc_lo, v10, v9
	v_add_co_ci_u32_e32 v9, vcc_lo, v11, v13, vcc_lo
	v_add_co_ci_u32_e32 v10, vcc_lo, 0, v14, vcc_lo
	v_add_co_u32 v8, vcc_lo, v9, v8
	v_add_co_ci_u32_e32 v9, vcc_lo, 0, v10, vcc_lo
	v_add_co_u32 v4, vcc_lo, v4, v8
	v_add_co_ci_u32_e32 v7, vcc_lo, v7, v9, vcc_lo
	v_mul_hi_u32 v8, s0, v4
	v_mul_lo_u32 v10, s26, v4
	v_mul_lo_u32 v9, s0, v7
	v_add_nc_u32_e32 v8, v8, v9
	v_mul_lo_u32 v9, s0, v4
	v_add_nc_u32_e32 v8, v8, v10
	v_mul_hi_u32 v10, v4, v9
	v_mul_lo_u32 v11, v4, v8
	v_mul_hi_u32 v12, v4, v8
	v_mul_hi_u32 v13, v7, v9
	v_mul_lo_u32 v9, v7, v9
	v_mul_hi_u32 v14, v7, v8
	v_mul_lo_u32 v8, v7, v8
	v_add_co_u32 v10, vcc_lo, v10, v11
	v_add_co_ci_u32_e32 v11, vcc_lo, 0, v12, vcc_lo
	v_add_co_u32 v9, vcc_lo, v10, v9
	v_add_co_ci_u32_e32 v9, vcc_lo, v11, v13, vcc_lo
	v_add_co_ci_u32_e32 v10, vcc_lo, 0, v14, vcc_lo
	v_add_co_u32 v8, vcc_lo, v9, v8
	v_add_co_ci_u32_e32 v9, vcc_lo, 0, v10, vcc_lo
	v_add_co_u32 v4, vcc_lo, v4, v8
	v_add_co_ci_u32_e32 v11, vcc_lo, v7, v9, vcc_lo
	v_mul_hi_u32 v13, v5, v4
	v_mad_u64_u32 v[9:10], null, v6, v4, 0
	v_mad_u64_u32 v[7:8], null, v5, v11, 0
	;; [unrolled: 1-line block ×3, first 2 shown]
	v_add_co_u32 v4, vcc_lo, v13, v7
	v_add_co_ci_u32_e32 v7, vcc_lo, 0, v8, vcc_lo
	v_add_co_u32 v4, vcc_lo, v4, v9
	v_add_co_ci_u32_e32 v4, vcc_lo, v7, v10, vcc_lo
	v_add_co_ci_u32_e32 v7, vcc_lo, 0, v12, vcc_lo
	v_add_co_u32 v4, vcc_lo, v4, v11
	v_add_co_ci_u32_e32 v9, vcc_lo, 0, v7, vcc_lo
	v_mul_lo_u32 v10, s25, v4
	v_mad_u64_u32 v[7:8], null, s24, v4, 0
	v_mul_lo_u32 v11, s24, v9
	v_sub_co_u32 v7, vcc_lo, v5, v7
	v_add3_u32 v8, v8, v11, v10
	v_sub_nc_u32_e32 v10, v6, v8
	v_subrev_co_ci_u32_e64 v10, s0, s25, v10, vcc_lo
	v_add_co_u32 v11, s0, v4, 2
	v_add_co_ci_u32_e64 v12, s0, 0, v9, s0
	v_sub_co_u32 v13, s0, v7, s24
	v_sub_co_ci_u32_e32 v8, vcc_lo, v6, v8, vcc_lo
	v_subrev_co_ci_u32_e64 v10, s0, 0, v10, s0
	v_cmp_le_u32_e32 vcc_lo, s24, v13
	v_cmp_eq_u32_e64 s0, s25, v8
	v_cndmask_b32_e64 v13, 0, -1, vcc_lo
	v_cmp_le_u32_e32 vcc_lo, s25, v10
	v_cndmask_b32_e64 v14, 0, -1, vcc_lo
	v_cmp_le_u32_e32 vcc_lo, s24, v7
	;; [unrolled: 2-line block ×3, first 2 shown]
	v_cndmask_b32_e64 v15, 0, -1, vcc_lo
	v_cmp_eq_u32_e32 vcc_lo, s25, v10
	v_cndmask_b32_e64 v7, v15, v7, s0
	v_cndmask_b32_e32 v10, v14, v13, vcc_lo
	v_add_co_u32 v13, vcc_lo, v4, 1
	v_add_co_ci_u32_e32 v14, vcc_lo, 0, v9, vcc_lo
	v_cmp_ne_u32_e32 vcc_lo, 0, v10
	v_cndmask_b32_e32 v8, v14, v12, vcc_lo
	v_cndmask_b32_e32 v10, v13, v11, vcc_lo
	v_cmp_ne_u32_e32 vcc_lo, 0, v7
	v_cndmask_b32_e32 v55, v9, v8, vcc_lo
	v_cndmask_b32_e32 v54, v4, v10, vcc_lo
.LBB0_4:                                ;   in Loop: Header=BB0_2 Depth=1
	s_andn2_saveexec_b32 s0, s1
	s_cbranch_execz .LBB0_6
; %bb.5:                                ;   in Loop: Header=BB0_2 Depth=1
	v_cvt_f32_u32_e32 v4, s24
	s_sub_i32 s1, 0, s24
	v_mov_b32_e32 v55, v3
	v_rcp_iflag_f32_e32 v4, v4
	v_mul_f32_e32 v4, 0x4f7ffffe, v4
	v_cvt_u32_f32_e32 v4, v4
	v_mul_lo_u32 v7, s1, v4
	v_mul_hi_u32 v7, v4, v7
	v_add_nc_u32_e32 v4, v4, v7
	v_mul_hi_u32 v4, v5, v4
	v_mul_lo_u32 v7, v4, s24
	v_add_nc_u32_e32 v8, 1, v4
	v_sub_nc_u32_e32 v7, v5, v7
	v_subrev_nc_u32_e32 v9, s24, v7
	v_cmp_le_u32_e32 vcc_lo, s24, v7
	v_cndmask_b32_e32 v7, v7, v9, vcc_lo
	v_cndmask_b32_e32 v4, v4, v8, vcc_lo
	v_cmp_le_u32_e32 vcc_lo, s24, v7
	v_add_nc_u32_e32 v8, 1, v4
	v_cndmask_b32_e32 v54, v4, v8, vcc_lo
.LBB0_6:                                ;   in Loop: Header=BB0_2 Depth=1
	s_or_b32 exec_lo, exec_lo, s0
	v_mul_lo_u32 v4, v55, s24
	v_mul_lo_u32 v9, v54, s25
	s_load_dwordx2 s[0:1], s[6:7], 0x0
	v_mad_u64_u32 v[7:8], null, v54, s24, 0
	s_load_dwordx2 s[24:25], s[2:3], 0x0
	s_add_u32 s22, s22, 1
	s_addc_u32 s23, s23, 0
	s_add_u32 s2, s2, 8
	s_addc_u32 s3, s3, 0
	s_add_u32 s6, s6, 8
	v_add3_u32 v4, v8, v9, v4
	v_sub_co_u32 v5, vcc_lo, v5, v7
	s_addc_u32 s7, s7, 0
	s_add_u32 s20, s20, 8
	v_sub_co_ci_u32_e32 v4, vcc_lo, v6, v4, vcc_lo
	s_addc_u32 s21, s21, 0
	s_waitcnt lgkmcnt(0)
	v_mul_lo_u32 v6, s0, v4
	v_mul_lo_u32 v7, s1, v5
	v_mad_u64_u32 v[1:2], null, s0, v5, v[1:2]
	v_mul_lo_u32 v4, s24, v4
	v_mul_lo_u32 v8, s25, v5
	v_mad_u64_u32 v[52:53], null, s24, v5, v[52:53]
	v_cmp_ge_u64_e64 s0, s[22:23], s[14:15]
	v_add3_u32 v2, v7, v2, v6
	v_add3_u32 v53, v8, v53, v4
	s_and_b32 vcc_lo, exec_lo, s0
	s_cbranch_vccnz .LBB0_9
; %bb.7:                                ;   in Loop: Header=BB0_2 Depth=1
	v_mov_b32_e32 v5, v54
	v_mov_b32_e32 v6, v55
	s_branch .LBB0_2
.LBB0_8:
	v_mov_b32_e32 v53, v2
	v_mov_b32_e32 v55, v6
	;; [unrolled: 1-line block ×4, first 2 shown]
.LBB0_9:
	s_load_dwordx2 s[0:1], s[4:5], 0x28
	v_mul_hi_u32 v3, 0x18d3019, v0
	s_lshl_b64 s[4:5], s[14:15], 3
                                        ; implicit-def: $vgpr38_vgpr39
                                        ; implicit-def: $vgpr46_vgpr47
                                        ; implicit-def: $vgpr34_vgpr35
                                        ; implicit-def: $vgpr30_vgpr31
                                        ; implicit-def: $vgpr14_vgpr15
                                        ; implicit-def: $vgpr18_vgpr19
                                        ; implicit-def: $vgpr22_vgpr23
                                        ; implicit-def: $vgpr26_vgpr27
                                        ; implicit-def: $vgpr42_vgpr43
                                        ; implicit-def: $vgpr50_vgpr51
                                        ; implicit-def: $vgpr10_vgpr11
	s_add_u32 s2, s18, s4
	s_addc_u32 s3, s19, s5
	v_mul_u32_u24_e32 v3, 0xa5, v3
	v_sub_nc_u32_e32 v56, v0, v3
	s_waitcnt lgkmcnt(0)
	v_cmp_gt_u64_e32 vcc_lo, s[0:1], v[54:55]
	v_cmp_gt_u32_e64 s0, 0x78, v56
	s_and_b32 s1, vcc_lo, s0
	s_and_saveexec_b32 s6, s1
	s_cbranch_execz .LBB0_11
; %bb.10:
	s_add_u32 s4, s16, s4
	s_addc_u32 s5, s17, s5
	v_mov_b32_e32 v57, 0
	s_load_dwordx2 s[4:5], s[4:5], 0x0
	s_waitcnt lgkmcnt(0)
	v_mul_lo_u32 v0, s5, v54
	v_mul_lo_u32 v5, s4, v55
	v_mad_u64_u32 v[3:4], null, s4, v54, 0
	v_add3_u32 v4, v4, v5, v0
	v_lshlrev_b64 v[0:1], 4, v[1:2]
	v_lshlrev_b64 v[3:4], 4, v[3:4]
	v_add_co_u32 v5, s1, s8, v3
	v_add_co_ci_u32_e64 v4, s1, s9, v4, s1
	v_lshlrev_b64 v[2:3], 4, v[56:57]
	v_add_co_u32 v0, s1, v5, v0
	v_add_co_ci_u32_e64 v1, s1, v4, v1, s1
	v_add_co_u32 v0, s1, v0, v2
	v_add_co_ci_u32_e64 v1, s1, v1, v3, s1
	s_clause 0x1
	global_load_dwordx4 v[8:11], v[0:1], off
	global_load_dwordx4 v[36:39], v[0:1], off offset:1920
	v_add_co_u32 v2, s1, 0x800, v0
	v_add_co_ci_u32_e64 v3, s1, 0, v1, s1
	v_add_co_u32 v4, s1, 0x1000, v0
	v_add_co_ci_u32_e64 v5, s1, 0, v1, s1
	;; [unrolled: 2-line block ×9, first 2 shown]
	s_clause 0x8
	global_load_dwordx4 v[44:47], v[2:3], off offset:1792
	global_load_dwordx4 v[48:51], v[4:5], off offset:1664
	;; [unrolled: 1-line block ×9, first 2 shown]
.LBB0_11:
	s_or_b32 exec_lo, exec_lo, s6
	s_waitcnt vmcnt(0)
	v_add_f64 v[63:64], v[36:37], v[12:13]
	v_add_f64 v[133:134], v[36:37], -v[12:13]
	s_mov_b32 s4, 0xd9c712b6
	s_mov_b32 s18, 0x8eee2c13
	;; [unrolled: 1-line block ×8, first 2 shown]
	v_add_f64 v[131:132], v[38:39], -v[14:15]
	v_add_f64 v[57:58], v[44:45], v[16:17]
	v_add_f64 v[99:100], v[38:39], v[14:15]
	v_add_f64 v[61:62], v[44:45], -v[16:17]
	s_mov_b32 s16, 0x7f775887
	s_mov_b32 s22, 0xbb3a28a1
	s_mov_b32 s8, 0x9bcd5057
	s_mov_b32 s17, 0xbfe4f49e
	s_mov_b32 s23, 0xbfe82f19
	s_mov_b32 s9, 0xbfeeb42a
	s_mov_b32 s21, 0x3fd207e7
	s_mov_b32 s20, 0xfd768dbf
	v_mul_f64 v[115:116], v[63:64], s[4:5]
	v_mul_f64 v[117:118], v[133:134], s[18:19]
	;; [unrolled: 1-line block ×4, first 2 shown]
	v_add_f64 v[113:114], v[46:47], -v[18:19]
	v_add_f64 v[105:106], v[46:47], v[18:19]
	v_add_f64 v[67:68], v[20:21], v[48:49]
	v_add_f64 v[111:112], v[48:49], -v[20:21]
	s_mov_b32 s25, 0x3fed1bb4
	s_mov_b32 s24, s18
	v_add_f64 v[103:104], v[50:51], -v[22:23]
	v_mul_f64 v[107:108], v[57:58], s[16:17]
	v_mul_f64 v[121:122], v[57:58], s[8:9]
	;; [unrolled: 1-line block ×4, first 2 shown]
	v_add_f64 v[87:88], v[22:23], v[50:51]
	v_add_f64 v[59:60], v[24:25], v[40:41]
	v_add_f64 v[79:80], v[40:41], -v[24:25]
	s_mov_b32 s26, 0x8764f0ba
	s_mov_b32 s28, 0xf8bb580b
	;; [unrolled: 1-line block ×4, first 2 shown]
	v_fma_f64 v[0:1], v[131:132], s[18:19], v[115:116]
	v_fma_f64 v[2:3], v[99:100], s[4:5], -v[117:118]
	v_fma_f64 v[4:5], v[131:132], s[14:15], v[125:126]
	v_fma_f64 v[6:7], v[99:100], s[6:7], -v[129:130]
	s_mov_b32 s29, 0xbfe14ced
	s_mov_b32 s34, s14
	v_mul_f64 v[97:98], v[67:68], s[8:9]
	v_mul_f64 v[101:102], v[111:112], s[20:21]
	;; [unrolled: 1-line block ×4, first 2 shown]
	v_add_f64 v[95:96], v[42:43], -v[26:27]
	v_fma_f64 v[71:72], v[113:114], s[22:23], v[107:108]
	v_fma_f64 v[77:78], v[113:114], s[20:21], v[121:122]
	v_fma_f64 v[73:74], v[105:106], s[16:17], -v[109:110]
	v_fma_f64 v[81:82], v[105:106], s[8:9], -v[123:124]
	v_add_f64 v[69:70], v[26:27], v[42:43]
	v_add_f64 v[65:66], v[32:33], v[28:29]
	v_add_f64 v[75:76], v[32:33], -v[28:29]
	v_mul_f64 v[83:84], v[59:60], s[6:7]
	v_mul_f64 v[85:86], v[79:80], s[34:35]
	;; [unrolled: 1-line block ×4, first 2 shown]
	v_add_f64 v[0:1], v[0:1], v[8:9]
	v_add_f64 v[2:3], v[2:3], v[10:11]
	;; [unrolled: 1-line block ×4, first 2 shown]
	s_mov_b32 s31, 0x3fe14ced
	s_mov_b32 s30, s28
	v_fma_f64 v[93:94], v[103:104], s[20:21], v[97:98]
	v_fma_f64 v[137:138], v[87:88], s[8:9], -v[101:102]
	v_fma_f64 v[139:140], v[103:104], s[24:25], v[119:120]
	v_fma_f64 v[141:142], v[87:88], s[4:5], -v[127:128]
	v_add_f64 v[91:92], v[34:35], -v[30:31]
	v_fma_f64 v[143:144], v[95:96], s[34:35], v[83:84]
	v_fma_f64 v[145:146], v[69:70], s[6:7], -v[85:86]
	v_add_f64 v[0:1], v[71:72], v[0:1]
	v_add_f64 v[2:3], v[73:74], v[2:3]
	v_add_f64 v[4:5], v[77:78], v[4:5]
	v_add_f64 v[6:7], v[81:82], v[6:7]
	v_add_f64 v[71:72], v[34:35], v[30:31]
	v_mul_f64 v[73:74], v[65:66], s[26:27]
	v_mul_f64 v[77:78], v[75:76], s[30:31]
	;; [unrolled: 1-line block ×3, first 2 shown]
	v_add_f64 v[0:1], v[93:94], v[0:1]
	v_add_f64 v[2:3], v[137:138], v[2:3]
	v_fma_f64 v[137:138], v[95:96], s[28:29], v[89:90]
	v_add_f64 v[4:5], v[139:140], v[4:5]
	v_fma_f64 v[139:140], v[69:70], s[26:27], -v[135:136]
	v_add_f64 v[6:7], v[141:142], v[6:7]
	v_mul_f64 v[93:94], v[75:76], s[22:23]
	v_fma_f64 v[141:142], v[91:92], s[30:31], v[73:74]
	v_add_f64 v[0:1], v[143:144], v[0:1]
	v_add_f64 v[2:3], v[145:146], v[2:3]
	v_fma_f64 v[143:144], v[71:72], s[26:27], -v[77:78]
	v_add_f64 v[4:5], v[137:138], v[4:5]
	v_fma_f64 v[137:138], v[91:92], s[22:23], v[81:82]
	v_add_f64 v[6:7], v[139:140], v[6:7]
	v_fma_f64 v[139:140], v[71:72], s[16:17], -v[93:94]
	v_add_f64 v[0:1], v[141:142], v[0:1]
	v_add_f64 v[2:3], v[143:144], v[2:3]
	;; [unrolled: 1-line block ×4, first 2 shown]
	s_and_saveexec_b32 s1, s0
	s_cbranch_execz .LBB0_13
; %bb.12:
	v_add_f64 v[38:39], v[38:39], v[10:11]
	v_add_f64 v[36:37], v[36:37], v[8:9]
	v_mul_f64 v[139:140], v[113:114], s[20:21]
	v_mul_f64 v[141:142], v[103:104], s[20:21]
	s_mov_b32 s21, 0xbfd207e7
	v_mul_f64 v[137:138], v[131:132], s[18:19]
	v_mul_f64 v[143:144], v[131:132], s[22:23]
	;; [unrolled: 1-line block ×10, first 2 shown]
	v_add_f64 v[38:39], v[46:47], v[38:39]
	v_add_f64 v[36:37], v[44:45], v[36:37]
	v_mul_f64 v[44:45], v[99:100], s[6:7]
	v_mul_f64 v[46:47], v[131:132], s[14:15]
	v_add_f64 v[121:122], v[121:122], -v[139:140]
	v_add_f64 v[115:116], v[115:116], -v[137:138]
	v_add_f64 v[97:98], v[97:98], -v[141:142]
	v_add_f64 v[135:136], v[145:146], v[135:136]
	v_mul_f64 v[145:146], v[111:112], s[22:23]
	v_add_f64 v[127:128], v[147:148], v[127:128]
	v_mul_f64 v[147:148], v[103:104], s[22:23]
	v_add_f64 v[123:124], v[149:150], v[123:124]
	v_fma_f64 v[139:140], v[105:106], s[6:7], -v[153:154]
	v_fma_f64 v[149:150], v[57:58], s[6:7], v[157:158]
	v_fma_f64 v[153:154], v[105:106], s[6:7], v[153:154]
	v_add_f64 v[119:120], v[119:120], -v[151:152]
	v_fma_f64 v[157:158], v[57:58], s[6:7], -v[157:158]
	v_add_f64 v[38:39], v[50:51], v[38:39]
	v_add_f64 v[36:37], v[48:49], v[36:37]
	v_mul_f64 v[48:49], v[99:100], s[4:5]
	v_mul_f64 v[50:51], v[133:134], s[22:23]
	v_add_f64 v[44:45], v[44:45], v[129:130]
	v_mul_f64 v[129:130], v[113:114], s[30:31]
	v_add_f64 v[46:47], v[125:126], -v[46:47]
	v_fma_f64 v[125:126], v[63:64], s[16:17], v[143:144]
	v_fma_f64 v[143:144], v[63:64], s[16:17], -v[143:144]
	v_add_f64 v[115:116], v[115:116], v[8:9]
	v_add_f64 v[38:39], v[42:43], v[38:39]
	;; [unrolled: 1-line block ×3, first 2 shown]
	v_mul_f64 v[40:41], v[133:134], s[28:29]
	v_mul_f64 v[42:43], v[133:134], s[20:21]
	;; [unrolled: 1-line block ×4, first 2 shown]
	v_add_f64 v[48:49], v[48:49], v[117:118]
	v_fma_f64 v[117:118], v[99:100], s[16:17], -v[50:51]
	v_fma_f64 v[50:51], v[99:100], s[16:17], v[50:51]
	v_add_f64 v[125:126], v[125:126], v[8:9]
	v_add_f64 v[44:45], v[44:45], v[10:11]
	;; [unrolled: 1-line block ×6, first 2 shown]
	v_fma_f64 v[36:37], v[99:100], s[26:27], -v[40:41]
	v_fma_f64 v[38:39], v[99:100], s[8:9], -v[42:43]
	v_fma_f64 v[40:41], v[99:100], s[26:27], v[40:41]
	v_fma_f64 v[137:138], v[63:64], s[8:9], v[133:134]
	;; [unrolled: 1-line block ×4, first 2 shown]
	v_fma_f64 v[131:132], v[63:64], s[26:27], -v[131:132]
	v_fma_f64 v[63:64], v[63:64], s[8:9], -v[133:134]
	v_mul_f64 v[133:134], v[111:112], s[28:29]
	v_add_f64 v[117:118], v[117:118], v[10:11]
	v_add_f64 v[50:51], v[50:51], v[10:11]
	;; [unrolled: 1-line block ×3, first 2 shown]
	v_fma_f64 v[149:150], v[87:88], s[16:17], -v[145:146]
	v_fma_f64 v[145:146], v[87:88], s[16:17], v[145:146]
	v_add_f64 v[44:45], v[123:124], v[44:45]
	v_mul_f64 v[123:124], v[113:114], s[22:23]
	v_mul_f64 v[113:114], v[113:114], s[18:19]
	;; [unrolled: 1-line block ×3, first 2 shown]
	v_add_f64 v[48:49], v[48:49], v[10:11]
	v_add_f64 v[46:47], v[121:122], v[46:47]
	;; [unrolled: 1-line block ×4, first 2 shown]
	v_fma_f64 v[32:33], v[105:106], s[26:27], -v[155:156]
	v_add_f64 v[34:35], v[38:39], v[10:11]
	v_fma_f64 v[38:39], v[57:58], s[26:27], v[129:130]
	v_add_f64 v[137:138], v[137:138], v[8:9]
	v_fma_f64 v[155:156], v[105:106], s[26:27], v[155:156]
	v_add_f64 v[42:43], v[42:43], v[10:11]
	v_fma_f64 v[129:130], v[57:58], s[26:27], -v[129:130]
	v_add_f64 v[63:64], v[63:64], v[8:9]
	v_fma_f64 v[151:152], v[87:88], s[26:27], -v[133:134]
	v_add_f64 v[117:118], v[139:140], v[117:118]
	v_add_f64 v[50:51], v[153:154], v[50:51]
	v_mul_f64 v[153:154], v[105:106], s[16:17]
	v_add_f64 v[36:37], v[36:37], v[10:11]
	v_add_f64 v[99:100], v[99:100], v[8:9]
	;; [unrolled: 1-line block ×3, first 2 shown]
	v_add_f64 v[107:108], v[107:108], -v[123:124]
	v_fma_f64 v[123:124], v[105:106], s[4:5], v[61:62]
	v_fma_f64 v[61:62], v[105:106], s[4:5], -v[61:62]
	v_fma_f64 v[105:106], v[57:58], s[4:5], -v[113:114]
	v_add_f64 v[8:9], v[131:132], v[8:9]
	v_add_f64 v[26:27], v[26:27], v[30:31]
	v_mul_f64 v[30:31], v[103:104], s[14:15]
	v_mul_f64 v[139:140], v[103:104], s[28:29]
	v_add_f64 v[32:33], v[32:33], v[34:35]
	v_mul_f64 v[34:35], v[79:80], s[24:25]
	v_add_f64 v[38:39], v[38:39], v[137:138]
	v_fma_f64 v[137:138], v[67:68], s[16:17], v[147:148]
	v_add_f64 v[42:43], v[155:156], v[42:43]
	v_fma_f64 v[147:148], v[67:68], s[16:17], -v[147:148]
	v_add_f64 v[63:64], v[129:130], v[63:64]
	v_mul_f64 v[129:130], v[95:96], s[24:25]
	v_add_f64 v[117:118], v[151:152], v[117:118]
	v_mul_f64 v[151:152], v[87:88], s[8:9]
	v_add_f64 v[109:110], v[153:154], v[109:110]
	v_fma_f64 v[57:58], v[57:58], s[4:5], v[113:114]
	v_add_f64 v[24:25], v[24:25], v[28:29]
	v_mul_f64 v[155:156], v[79:80], s[20:21]
	v_fma_f64 v[133:134], v[87:88], s[26:27], v[133:134]
	v_mul_f64 v[153:154], v[95:96], s[34:35]
	v_mul_f64 v[28:29], v[69:70], s[6:7]
	v_add_f64 v[107:108], v[107:108], v[115:116]
	v_fma_f64 v[115:116], v[87:88], s[6:7], -v[111:112]
	v_fma_f64 v[87:88], v[87:88], s[6:7], v[111:112]
	v_add_f64 v[10:11], v[123:124], v[10:11]
	v_mul_f64 v[123:124], v[95:96], s[20:21]
	v_add_f64 v[8:9], v[105:106], v[8:9]
	v_mul_f64 v[79:80], v[79:80], s[22:23]
	v_add_f64 v[36:37], v[61:62], v[36:37]
	v_add_f64 v[38:39], v[137:138], v[38:39]
	v_fma_f64 v[137:138], v[69:70], s[4:5], -v[34:35]
	v_add_f64 v[42:43], v[145:146], v[42:43]
	v_add_f64 v[63:64], v[147:148], v[63:64]
	v_fma_f64 v[147:148], v[59:60], s[4:5], v[129:130]
	v_fma_f64 v[34:35], v[69:70], s[4:5], v[34:35]
	v_fma_f64 v[129:130], v[59:60], s[4:5], -v[129:130]
	v_add_f64 v[101:102], v[151:152], v[101:102]
	v_add_f64 v[48:49], v[109:110], v[48:49]
	v_fma_f64 v[61:62], v[67:68], s[6:7], -v[30:31]
	v_add_f64 v[40:41], v[157:158], v[143:144]
	v_add_f64 v[44:45], v[127:128], v[44:45]
	v_fma_f64 v[127:128], v[67:68], s[26:27], -v[139:140]
	v_add_f64 v[32:33], v[149:150], v[32:33]
	v_fma_f64 v[149:150], v[67:68], s[26:27], v[139:140]
	v_fma_f64 v[30:31], v[67:68], s[6:7], v[30:31]
	v_add_f64 v[57:58], v[57:58], v[99:100]
	v_mul_f64 v[103:104], v[75:76], s[14:15]
	v_add_f64 v[22:23], v[22:23], v[26:27]
	v_add_f64 v[20:21], v[20:21], v[24:25]
	v_mul_f64 v[113:114], v[91:92], s[14:15]
	v_mul_f64 v[109:110], v[91:92], s[30:31]
	;; [unrolled: 1-line block ×5, first 2 shown]
	v_add_f64 v[28:29], v[28:29], v[85:86]
	v_mul_f64 v[85:86], v[91:92], s[24:25]
	v_add_f64 v[34:35], v[34:35], v[42:43]
	v_add_f64 v[42:43], v[129:130], v[63:64]
	v_mul_f64 v[63:64], v[95:96], s[28:29]
	v_mul_f64 v[95:96], v[95:96], s[22:23]
	v_add_f64 v[48:49], v[101:102], v[48:49]
	v_mul_f64 v[75:76], v[75:76], s[20:21]
	v_mul_f64 v[91:92], v[91:92], s[20:21]
	v_add_f64 v[10:11], v[87:88], v[10:11]
	v_fma_f64 v[87:88], v[69:70], s[16:17], v[79:80]
	v_add_f64 v[8:9], v[61:62], v[8:9]
	v_mul_f64 v[111:112], v[71:72], s[26:27]
	v_add_f64 v[83:84], v[83:84], -v[153:154]
	v_add_f64 v[26:27], v[97:98], v[107:108]
	v_add_f64 v[46:47], v[119:120], v[46:47]
	;; [unrolled: 1-line block ×3, first 2 shown]
	v_fma_f64 v[129:130], v[69:70], s[8:9], v[155:156]
	v_fma_f64 v[131:132], v[59:60], s[8:9], v[123:124]
	v_fma_f64 v[123:124], v[59:60], s[8:9], -v[123:124]
	v_add_f64 v[40:41], v[127:128], v[40:41]
	v_fma_f64 v[145:146], v[69:70], s[8:9], -v[155:156]
	v_add_f64 v[125:126], v[149:150], v[125:126]
	;; [unrolled: 2-line block ×3, first 2 shown]
	v_add_f64 v[30:31], v[30:31], v[57:58]
	v_add_f64 v[63:64], v[89:90], -v[63:64]
	v_fma_f64 v[24:25], v[59:60], s[16:17], -v[95:96]
	v_fma_f64 v[59:60], v[59:60], s[16:17], v[95:96]
	v_fma_f64 v[99:100], v[71:72], s[6:7], -v[103:104]
	v_fma_f64 v[103:104], v[71:72], s[6:7], v[103:104]
	v_add_f64 v[18:19], v[18:19], v[22:23]
	v_add_f64 v[22:23], v[16:17], v[20:21]
	;; [unrolled: 1-line block ×4, first 2 shown]
	v_add_f64 v[79:80], v[81:82], -v[105:106]
	v_add_f64 v[28:29], v[28:29], v[48:49]
	v_add_f64 v[48:49], v[73:74], -v[109:110]
	v_fma_f64 v[73:74], v[71:72], s[8:9], v[75:76]
	v_add_f64 v[81:82], v[87:88], v[10:11]
	v_fma_f64 v[87:88], v[65:66], s[8:9], -v[91:92]
	v_add_f64 v[77:78], v[111:112], v[77:78]
	v_add_f64 v[26:27], v[83:84], v[26:27]
	;; [unrolled: 1-line block ×3, first 2 shown]
	v_fma_f64 v[61:62], v[71:72], s[4:5], v[121:122]
	v_add_f64 v[50:51], v[129:130], v[50:51]
	v_fma_f64 v[57:58], v[65:66], s[4:5], -v[85:86]
	v_add_f64 v[40:41], v[123:124], v[40:41]
	v_add_f64 v[46:47], v[63:64], v[46:47]
	;; [unrolled: 1-line block ×3, first 2 shown]
	v_fma_f64 v[89:90], v[65:66], s[6:7], v[113:114]
	v_fma_f64 v[113:114], v[65:66], s[6:7], -v[113:114]
	v_add_f64 v[38:39], v[147:148], v[38:39]
	v_add_f64 v[117:118], v[145:146], v[117:118]
	v_fma_f64 v[101:102], v[71:72], s[4:5], -v[121:122]
	v_fma_f64 v[63:64], v[65:66], s[4:5], v[85:86]
	v_add_f64 v[83:84], v[131:132], v[125:126]
	v_fma_f64 v[71:72], v[71:72], s[8:9], -v[75:76]
	v_add_f64 v[69:70], v[69:70], v[36:37]
	v_fma_f64 v[65:66], v[65:66], s[8:9], v[91:92]
	v_add_f64 v[59:60], v[59:60], v[30:31]
	v_add_f64 v[16:17], v[103:104], v[34:35]
	;; [unrolled: 1-line block ×15, first 2 shown]
	v_mad_u32_u24 v12, 0xb0, v56, 0
	v_add_f64 v[40:41], v[101:102], v[117:118]
	v_add_f64 v[38:39], v[63:64], v[83:84]
	;; [unrolled: 1-line block ×4, first 2 shown]
	ds_write_b128 v12, v[34:37]
	ds_write_b128 v12, v[30:33] offset:16
	ds_write_b128 v12, v[26:29] offset:32
	;; [unrolled: 1-line block ×10, first 2 shown]
.LBB0_13:
	s_or_b32 exec_lo, exec_lo, s1
	v_and_b32_e32 v42, 0xff, v56
	v_add_nc_u32_e32 v44, 0x14a, v56
	v_mov_b32_e32 v10, 0xba2f
	v_add_nc_u32_e32 v40, 0xa5, v56
	v_add_nc_u32_e32 v11, 0x1ef, v56
	v_mul_lo_u16 v8, 0x75, v42
	v_mov_b32_e32 v43, 4
	v_mul_u32_u24_sdwa v45, v44, v10 dst_sel:DWORD dst_unused:UNUSED_PAD src0_sel:WORD_0 src1_sel:DWORD
	v_mul_u32_u24_sdwa v46, v40, v10 dst_sel:DWORD dst_unused:UNUSED_PAD src0_sel:WORD_0 src1_sel:DWORD
	s_load_dwordx2 s[2:3], s[2:3], 0x0
	v_lshrrev_b16 v8, 8, v8
	s_waitcnt lgkmcnt(0)
	v_lshrrev_b32_e32 v51, 19, v45
	v_lshrrev_b32_e32 v70, 19, v46
	s_barrier
	v_sub_nc_u16 v9, v56, v8
	buffer_gl0_inv
	v_lshl_add_u32 v41, v56, 4, 0
	v_cmp_gt_u32_e64 s0, 0x6e, v56
	v_lshrrev_b16 v9, 1, v9
	v_and_b32_e32 v9, 0x7f, v9
	v_add_nc_u16 v8, v9, v8
	v_mul_u32_u24_sdwa v9, v11, v10 dst_sel:DWORD dst_unused:UNUSED_PAD src0_sel:WORD_0 src1_sel:DWORD
	v_mul_lo_u16 v10, v70, 11
	v_lshrrev_b16 v69, 3, v8
	v_lshrrev_b32_e32 v71, 19, v9
	v_mul_lo_u16 v8, v51, 11
	v_sub_nc_u16 v10, v40, v10
	v_mul_lo_u16 v9, v69, 11
	v_mul_lo_u16 v12, v71, 11
	v_sub_nc_u16 v8, v44, v8
	v_lshlrev_b32_sdwa v74, v43, v10 dst_sel:DWORD dst_unused:UNUSED_PAD src0_sel:DWORD src1_sel:WORD_0
	v_sub_nc_u16 v9, v56, v9
	v_sub_nc_u16 v11, v11, v12
	v_lshlrev_b32_sdwa v72, v43, v8 dst_sel:DWORD dst_unused:UNUSED_PAD src0_sel:DWORD src1_sel:WORD_0
	v_lshlrev_b32_sdwa v73, v43, v9 dst_sel:DWORD dst_unused:UNUSED_PAD src0_sel:DWORD src1_sel:BYTE_0
	v_lshlrev_b32_sdwa v75, v43, v11 dst_sel:DWORD dst_unused:UNUSED_PAD src0_sel:DWORD src1_sel:WORD_0
	s_clause 0x3
	global_load_dwordx4 v[8:11], v72, s[12:13]
	global_load_dwordx4 v[12:15], v73, s[12:13]
	;; [unrolled: 1-line block ×4, first 2 shown]
	ds_read_b128 v[24:27], v41 offset:15840
	ds_read_b128 v[28:31], v41 offset:10560
	;; [unrolled: 1-line block ×4, first 2 shown]
	ds_read_b128 v[47:50], v41
	ds_read_b128 v[57:60], v41 offset:2640
	s_waitcnt vmcnt(3) lgkmcnt(5)
	v_mul_f64 v[61:62], v[26:27], v[10:11]
	s_waitcnt vmcnt(2) lgkmcnt(4)
	v_mul_f64 v[63:64], v[30:31], v[14:15]
	v_mul_f64 v[14:15], v[28:29], v[14:15]
	s_waitcnt vmcnt(1) lgkmcnt(3)
	v_mul_f64 v[65:66], v[34:35], v[18:19]
	v_mul_f64 v[18:19], v[32:33], v[18:19]
	;; [unrolled: 1-line block ×3, first 2 shown]
	s_waitcnt vmcnt(0) lgkmcnt(2)
	v_mul_f64 v[67:68], v[38:39], v[22:23]
	v_mul_f64 v[22:23], v[36:37], v[22:23]
	v_fma_f64 v[61:62], v[24:25], v[8:9], -v[61:62]
	v_fma_f64 v[24:25], v[28:29], v[12:13], -v[63:64]
	v_fma_f64 v[28:29], v[30:31], v[12:13], v[14:15]
	v_fma_f64 v[30:31], v[32:33], v[16:17], -v[65:66]
	v_fma_f64 v[32:33], v[34:35], v[16:17], v[18:19]
	v_fma_f64 v[34:35], v[26:27], v[8:9], v[10:11]
	v_fma_f64 v[36:37], v[36:37], v[20:21], -v[67:68]
	ds_read_b128 v[8:11], v41 offset:5280
	ds_read_b128 v[12:15], v41 offset:7920
	v_fma_f64 v[22:23], v[38:39], v[20:21], v[22:23]
	s_waitcnt lgkmcnt(0)
	s_barrier
	buffer_gl0_inv
	v_add_f64 v[16:17], v[47:48], -v[24:25]
	v_add_f64 v[18:19], v[49:50], -v[28:29]
	;; [unrolled: 1-line block ×8, first 2 shown]
	v_fma_f64 v[32:33], v[47:48], 2.0, -v[16:17]
	v_fma_f64 v[34:35], v[49:50], 2.0, -v[18:19]
	;; [unrolled: 1-line block ×7, first 2 shown]
	v_mov_b32_e32 v12, 0x160
	v_fma_f64 v[10:11], v[14:15], 2.0, -v[22:23]
	v_mul_u32_u24_e32 v13, 0x160, v70
	v_mul_u32_u24_e32 v14, 0x160, v51
	;; [unrolled: 1-line block ×3, first 2 shown]
	v_mul_u32_u24_sdwa v12, v69, v12 dst_sel:DWORD dst_unused:UNUSED_PAD src0_sel:WORD_0 src1_sel:DWORD
	v_add3_u32 v13, 0, v13, v74
	v_add3_u32 v14, 0, v14, v72
	v_add3_u32 v15, 0, v15, v75
	v_add3_u32 v12, 0, v12, v73
	ds_write_b128 v12, v[16:19] offset:176
	ds_write_b128 v12, v[32:35]
	ds_write_b128 v13, v[36:39]
	ds_write_b128 v13, v[24:27] offset:176
	ds_write_b128 v14, v[47:50]
	ds_write_b128 v14, v[28:31] offset:176
	;; [unrolled: 2-line block ×3, first 2 shown]
	s_waitcnt lgkmcnt(0)
	s_barrier
	buffer_gl0_inv
	ds_read_b128 v[12:15], v41
	ds_read_b128 v[16:19], v41 offset:2640
	ds_read_b128 v[24:27], v41 offset:7040
	;; [unrolled: 1-line block ×5, first 2 shown]
	s_and_saveexec_b32 s1, s0
	s_cbranch_execz .LBB0_15
; %bb.14:
	ds_read_b128 v[8:11], v41 offset:5280
	ds_read_b128 v[20:23], v41 offset:12320
	;; [unrolled: 1-line block ×3, first 2 shown]
.LBB0_15:
	s_or_b32 exec_lo, exec_lo, s1
	v_lshrrev_b16 v47, 1, v56
	v_lshrrev_b32_e32 v87, 20, v46
	v_lshrrev_b32_e32 v45, 20, v45
	v_mov_b32_e32 v50, 5
	s_mov_b32 s4, 0xe8584caa
	v_and_b32_e32 v47, 0x7f, v47
	s_mov_b32 s5, 0x3febb67a
	s_mov_b32 s7, 0xbfebb67a
	;; [unrolled: 1-line block ×3, first 2 shown]
	v_mul_lo_u16 v46, 0xbb, v47
	v_mul_lo_u16 v47, v87, 22
	v_lshrrev_b16 v88, 11, v46
	v_mul_lo_u16 v46, v45, 22
	v_sub_nc_u16 v89, v40, v47
	v_mul_lo_u16 v47, v88, 22
	v_sub_nc_u16 v44, v44, v46
	v_lshlrev_b32_sdwa v51, v50, v89 dst_sel:DWORD dst_unused:UNUSED_PAD src0_sel:DWORD src1_sel:WORD_0
	v_sub_nc_u16 v90, v56, v47
	v_lshlrev_b32_sdwa v65, v50, v44 dst_sel:DWORD dst_unused:UNUSED_PAD src0_sel:DWORD src1_sel:WORD_0
	global_load_dwordx4 v[46:49], v51, s[12:13] offset:176
	v_lshlrev_b32_sdwa v50, v50, v90 dst_sel:DWORD dst_unused:UNUSED_PAD src0_sel:DWORD src1_sel:BYTE_0
	s_clause 0x4
	global_load_dwordx4 v[57:60], v51, s[12:13] offset:192
	global_load_dwordx4 v[61:64], v65, s[12:13] offset:176
	;; [unrolled: 1-line block ×5, first 2 shown]
	s_waitcnt vmcnt(0) lgkmcnt(0)
	s_barrier
	buffer_gl0_inv
	v_mul_f64 v[50:51], v[34:35], v[48:49]
	v_mul_f64 v[48:49], v[32:33], v[48:49]
	;; [unrolled: 1-line block ×12, first 2 shown]
	v_fma_f64 v[32:33], v[32:33], v[46:47], -v[50:51]
	v_fma_f64 v[34:35], v[34:35], v[46:47], v[48:49]
	v_fma_f64 v[36:37], v[36:37], v[57:58], -v[77:78]
	v_fma_f64 v[38:39], v[38:39], v[57:58], v[59:60]
	v_fma_f64 v[20:21], v[20:21], v[61:62], -v[79:80]
	v_fma_f64 v[4:5], v[4:5], v[65:66], -v[81:82]
	;; [unrolled: 1-line block ×4, first 2 shown]
	v_fma_f64 v[26:27], v[26:27], v[69:70], v[71:72]
	v_fma_f64 v[30:31], v[30:31], v[73:74], v[75:76]
	;; [unrolled: 1-line block ×4, first 2 shown]
	v_add_f64 v[63:64], v[16:17], v[32:33]
	v_add_f64 v[46:47], v[32:33], v[36:37]
	;; [unrolled: 1-line block ×3, first 2 shown]
	v_add_f64 v[65:66], v[34:35], -v[38:39]
	v_add_f64 v[50:51], v[20:21], v[4:5]
	v_add_f64 v[34:35], v[18:19], v[34:35]
	;; [unrolled: 1-line block ×3, first 2 shown]
	v_add_f64 v[32:33], v[32:33], -v[36:37]
	v_add_f64 v[59:60], v[26:27], v[30:31]
	v_add_f64 v[67:68], v[8:9], v[20:21]
	;; [unrolled: 1-line block ×6, first 2 shown]
	v_add_f64 v[75:76], v[24:25], -v[28:29]
	v_fma_f64 v[16:17], v[46:47], -0.5, v[16:17]
	v_add_f64 v[46:47], v[22:23], -v[6:7]
	v_fma_f64 v[18:19], v[48:49], -0.5, v[18:19]
	v_fma_f64 v[50:51], v[50:51], -0.5, v[8:9]
	v_add_f64 v[48:49], v[26:27], -v[30:31]
	v_fma_f64 v[57:58], v[57:58], -0.5, v[12:13]
	v_add_f64 v[22:23], v[34:35], v[38:39]
	v_fma_f64 v[14:15], v[59:60], -0.5, v[14:15]
	v_add_f64 v[59:60], v[20:21], -v[4:5]
	v_fma_f64 v[61:62], v[61:62], -0.5, v[10:11]
	v_add_f64 v[8:9], v[67:68], v[4:5]
	v_add_f64 v[10:11], v[69:70], v[6:7]
	;; [unrolled: 1-line block ×5, first 2 shown]
	v_fma_f64 v[28:29], v[65:66], s[4:5], v[16:17]
	v_fma_f64 v[4:5], v[65:66], s[6:7], v[16:17]
	;; [unrolled: 1-line block ×12, first 2 shown]
	v_mov_b32_e32 v46, 0x420
	v_lshlrev_b32_sdwa v48, v43, v90 dst_sel:DWORD dst_unused:UNUSED_PAD src0_sel:DWORD src1_sel:BYTE_0
	v_mul_u32_u24_e32 v47, 0x420, v87
	v_lshlrev_b32_sdwa v43, v43, v89 dst_sel:DWORD dst_unused:UNUSED_PAD src0_sel:DWORD src1_sel:WORD_0
	v_mul_u32_u24_sdwa v46, v88, v46 dst_sel:DWORD dst_unused:UNUSED_PAD src0_sel:WORD_0 src1_sel:DWORD
	v_add3_u32 v43, 0, v47, v43
	v_add3_u32 v46, 0, v46, v48
	ds_write_b128 v46, v[24:27]
	ds_write_b128 v46, v[32:35] offset:352
	ds_write_b128 v46, v[36:39] offset:704
	ds_write_b128 v43, v[20:23]
	ds_write_b128 v43, v[28:31] offset:352
	ds_write_b128 v43, v[4:7] offset:704
	s_and_saveexec_b32 s1, s0
	s_cbranch_execz .LBB0_17
; %bb.16:
	v_mov_b32_e32 v20, 4
	v_mul_lo_u16 v21, 0x42, v45
	v_lshlrev_b32_sdwa v22, v20, v44 dst_sel:DWORD dst_unused:UNUSED_PAD src0_sel:DWORD src1_sel:WORD_0
	v_lshlrev_b32_sdwa v20, v20, v21 dst_sel:DWORD dst_unused:UNUSED_PAD src0_sel:DWORD src1_sel:WORD_0
	v_add3_u32 v20, 0, v22, v20
	ds_write_b128 v20, v[8:11]
	ds_write_b128 v20, v[12:15] offset:352
	ds_write_b128 v20, v[16:19] offset:704
.LBB0_17:
	s_or_b32 exec_lo, exec_lo, s1
	s_waitcnt lgkmcnt(0)
	s_barrier
	buffer_gl0_inv
	ds_read_b128 v[20:23], v41
	ds_read_b128 v[36:39], v41 offset:4224
	ds_read_b128 v[24:27], v41 offset:8448
	;; [unrolled: 1-line block ×4, first 2 shown]
	v_cmp_gt_u32_e64 s0, 0x63, v56
	s_and_saveexec_b32 s1, s0
	s_cbranch_execz .LBB0_19
; %bb.18:
	ds_read_b128 v[4:7], v41 offset:2640
	ds_read_b128 v[8:11], v41 offset:6864
	;; [unrolled: 1-line block ×5, first 2 shown]
.LBB0_19:
	s_or_b32 exec_lo, exec_lo, s1
	v_mul_lo_u16 v42, 0xf9, v42
	s_mov_b32 s4, 0x134454ff
	s_mov_b32 s5, 0x3fee6f0e
	;; [unrolled: 1-line block ×4, first 2 shown]
	v_lshrrev_b16 v51, 14, v42
	v_mov_b32_e32 v42, 6
	s_mov_b32 s14, 0x4755a5e
	s_mov_b32 s15, 0x3fe2cf23
	s_mov_b32 s9, 0xbfe2cf23
	v_mul_lo_u16 v43, 0x42, v51
	s_mov_b32 s8, s14
	s_mov_b32 s16, 0x372fe950
	;; [unrolled: 1-line block ×3, first 2 shown]
	v_sub_nc_u16 v81, v56, v43
	v_lshlrev_b32_sdwa v61, v42, v81 dst_sel:DWORD dst_unused:UNUSED_PAD src0_sel:DWORD src1_sel:BYTE_0
	s_clause 0x3
	global_load_dwordx4 v[43:46], v61, s[12:13] offset:880
	global_load_dwordx4 v[47:50], v61, s[12:13] offset:896
	;; [unrolled: 1-line block ×4, first 2 shown]
	s_waitcnt vmcnt(0) lgkmcnt(0)
	s_barrier
	buffer_gl0_inv
	v_mul_f64 v[65:66], v[38:39], v[45:46]
	v_mul_f64 v[67:68], v[26:27], v[49:50]
	;; [unrolled: 1-line block ×8, first 2 shown]
	v_fma_f64 v[36:37], v[36:37], v[43:44], -v[65:66]
	v_fma_f64 v[24:25], v[24:25], v[47:48], -v[67:68]
	;; [unrolled: 1-line block ×4, first 2 shown]
	v_fma_f64 v[26:27], v[26:27], v[47:48], v[49:50]
	v_fma_f64 v[30:31], v[30:31], v[57:58], v[59:60]
	v_fma_f64 v[38:39], v[38:39], v[43:44], v[45:46]
	v_fma_f64 v[34:35], v[34:35], v[61:62], v[63:64]
	v_add_f64 v[57:58], v[20:21], v[36:37]
	v_add_f64 v[43:44], v[24:25], v[28:29]
	;; [unrolled: 1-line block ×3, first 2 shown]
	v_add_f64 v[65:66], v[36:37], -v[32:33]
	v_add_f64 v[47:48], v[26:27], v[30:31]
	v_add_f64 v[63:64], v[22:23], v[38:39]
	;; [unrolled: 1-line block ×3, first 2 shown]
	v_add_f64 v[59:60], v[38:39], -v[34:35]
	v_add_f64 v[61:62], v[26:27], -v[30:31]
	;; [unrolled: 1-line block ×8, first 2 shown]
	v_fma_f64 v[43:44], v[43:44], -0.5, v[20:21]
	v_fma_f64 v[20:21], v[45:46], -0.5, v[20:21]
	v_add_f64 v[45:46], v[24:25], -v[28:29]
	v_fma_f64 v[47:48], v[47:48], -0.5, v[22:23]
	v_add_f64 v[26:27], v[63:64], v[26:27]
	v_fma_f64 v[22:23], v[49:50], -0.5, v[22:23]
	v_add_f64 v[49:50], v[36:37], -v[24:25]
	v_add_f64 v[36:37], v[24:25], -v[36:37]
	v_add_f64 v[24:25], v[57:58], v[24:25]
	v_add_f64 v[38:39], v[38:39], v[75:76]
	v_fma_f64 v[57:58], v[59:60], s[4:5], v[43:44]
	v_fma_f64 v[43:44], v[59:60], s[6:7], v[43:44]
	;; [unrolled: 1-line block ×8, first 2 shown]
	v_add_f64 v[24:25], v[24:25], v[28:29]
	v_add_f64 v[26:27], v[26:27], v[30:31]
	;; [unrolled: 1-line block ×5, first 2 shown]
	v_fma_f64 v[28:29], v[61:62], s[14:15], v[57:58]
	v_fma_f64 v[30:31], v[61:62], s[8:9], v[43:44]
	;; [unrolled: 1-line block ×8, first 2 shown]
	v_add_f64 v[21:22], v[24:25], v[32:33]
	v_add_f64 v[23:24], v[26:27], v[34:35]
	v_mov_b32_e32 v20, 4
	v_fma_f64 v[25:26], v[49:50], s[16:17], v[28:29]
	v_fma_f64 v[29:30], v[49:50], s[16:17], v[30:31]
	;; [unrolled: 1-line block ×8, first 2 shown]
	v_mov_b32_e32 v37, 0x14a0
	v_lshlrev_b32_sdwa v38, v20, v81 dst_sel:DWORD dst_unused:UNUSED_PAD src0_sel:DWORD src1_sel:BYTE_0
	v_mul_u32_u24_sdwa v37, v51, v37 dst_sel:DWORD dst_unused:UNUSED_PAD src0_sel:WORD_0 src1_sel:DWORD
	v_add3_u32 v37, 0, v37, v38
	ds_write_b128 v37, v[21:24]
	ds_write_b128 v37, v[25:28] offset:1056
	ds_write_b128 v37, v[33:36] offset:2112
	;; [unrolled: 1-line block ×4, first 2 shown]
	s_and_saveexec_b32 s1, s0
	s_cbranch_execz .LBB0_21
; %bb.20:
	v_mov_b32_e32 v21, 0xf83f
	v_mul_u32_u24_sdwa v21, v40, v21 dst_sel:DWORD dst_unused:UNUSED_PAD src0_sel:WORD_0 src1_sel:DWORD
	v_lshrrev_b32_e32 v39, 22, v21
	v_mul_lo_u16 v21, 0x42, v39
	v_sub_nc_u16 v61, v40, v21
	v_lshlrev_b32_sdwa v33, v42, v61 dst_sel:DWORD dst_unused:UNUSED_PAD src0_sel:DWORD src1_sel:WORD_0
	s_clause 0x3
	global_load_dwordx4 v[21:24], v33, s[12:13] offset:896
	global_load_dwordx4 v[25:28], v33, s[12:13] offset:880
	;; [unrolled: 1-line block ×4, first 2 shown]
	s_waitcnt vmcnt(3)
	v_mul_f64 v[37:38], v[12:13], v[23:24]
	s_waitcnt vmcnt(2)
	v_mul_f64 v[42:43], v[8:9], v[27:28]
	;; [unrolled: 2-line block ×4, first 2 shown]
	v_mul_f64 v[23:24], v[14:15], v[23:24]
	v_mul_f64 v[35:36], v[18:19], v[35:36]
	;; [unrolled: 1-line block ×4, first 2 shown]
	v_fma_f64 v[14:15], v[14:15], v[21:22], v[37:38]
	v_fma_f64 v[10:11], v[10:11], v[25:26], v[42:43]
	v_fma_f64 v[2:3], v[2:3], v[29:30], v[44:45]
	v_fma_f64 v[18:19], v[18:19], v[33:34], v[46:47]
	v_fma_f64 v[12:13], v[12:13], v[21:22], -v[23:24]
	v_fma_f64 v[16:17], v[16:17], v[33:34], -v[35:36]
	;; [unrolled: 1-line block ×4, first 2 shown]
	v_add_f64 v[33:34], v[6:7], v[10:11]
	v_add_f64 v[21:22], v[10:11], v[2:3]
	;; [unrolled: 1-line block ×3, first 2 shown]
	v_add_f64 v[37:38], v[14:15], -v[18:19]
	v_add_f64 v[25:26], v[12:13], v[16:17]
	v_add_f64 v[35:36], v[4:5], v[8:9]
	;; [unrolled: 1-line block ×3, first 2 shown]
	v_add_f64 v[29:30], v[8:9], -v[0:1]
	v_add_f64 v[31:32], v[12:13], -v[16:17]
	;; [unrolled: 1-line block ×8, first 2 shown]
	v_fma_f64 v[21:22], v[21:22], -0.5, v[6:7]
	v_fma_f64 v[6:7], v[23:24], -0.5, v[6:7]
	v_add_f64 v[23:24], v[10:11], -v[2:3]
	v_fma_f64 v[25:26], v[25:26], -0.5, v[4:5]
	v_add_f64 v[12:13], v[35:36], v[12:13]
	v_fma_f64 v[4:5], v[27:28], -0.5, v[4:5]
	v_add_f64 v[27:28], v[14:15], -v[10:11]
	v_add_f64 v[10:11], v[10:11], -v[14:15]
	v_add_f64 v[14:15], v[33:34], v[14:15]
	v_fma_f64 v[33:34], v[31:32], s[6:7], v[21:22]
	v_fma_f64 v[21:22], v[31:32], s[4:5], v[21:22]
	;; [unrolled: 1-line block ×8, first 2 shown]
	v_add_f64 v[27:28], v[27:28], v[42:43]
	v_add_f64 v[42:43], v[10:11], v[44:45]
	;; [unrolled: 1-line block ×6, first 2 shown]
	v_fma_f64 v[12:13], v[29:30], s[14:15], v[33:34]
	v_fma_f64 v[14:15], v[29:30], s[8:9], v[21:22]
	;; [unrolled: 1-line block ×8, first 2 shown]
	v_add_f64 v[2:3], v[8:9], v[2:3]
	v_add_f64 v[0:1], v[10:11], v[0:1]
	v_fma_f64 v[6:7], v[27:28], s[16:17], v[12:13]
	v_fma_f64 v[10:11], v[27:28], s[16:17], v[14:15]
	;; [unrolled: 1-line block ×8, first 2 shown]
	v_mul_lo_u16 v21, 0x14a, v39
	v_lshlrev_b32_sdwa v21, v20, v21 dst_sel:DWORD dst_unused:UNUSED_PAD src0_sel:DWORD src1_sel:WORD_0
	v_lshlrev_b32_sdwa v20, v20, v61 dst_sel:DWORD dst_unused:UNUSED_PAD src0_sel:DWORD src1_sel:WORD_0
	v_add3_u32 v20, 0, v20, v21
	ds_write_b128 v20, v[0:3]
	ds_write_b128 v20, v[16:19] offset:1056
	ds_write_b128 v20, v[8:11] offset:2112
	;; [unrolled: 1-line block ×4, first 2 shown]
.LBB0_21:
	s_or_b32 exec_lo, exec_lo, s1
	s_waitcnt lgkmcnt(0)
	s_barrier
	buffer_gl0_inv
	s_and_saveexec_b32 s0, vcc_lo
	s_cbranch_execz .LBB0_23
; %bb.22:
	v_mul_u32_u24_e32 v0, 3, v40
	v_mul_u32_u24_e32 v1, 3, v56
	v_mov_b32_e32 v57, 0
	v_lshlrev_b32_e32 v0, 4, v0
	v_lshlrev_b32_e32 v3, 4, v1
	v_add_co_u32 v0, s0, s12, v0
	v_add_co_ci_u32_e64 v2, null, s13, 0, s0
	v_add_co_u32 v12, s0, s12, v3
	v_add_co_u32 v8, vcc_lo, 0x13f0, v0
	v_add_co_ci_u32_e32 v9, vcc_lo, 0, v2, vcc_lo
	v_add_co_u32 v0, vcc_lo, 0x1000, v0
	v_add_co_ci_u32_e64 v13, null, s13, 0, s0
	v_add_co_ci_u32_e32 v1, vcc_lo, 0, v2, vcc_lo
	v_add_co_u32 v20, vcc_lo, 0x13f0, v12
	v_add_co_ci_u32_e32 v21, vcc_lo, 0, v13, vcc_lo
	v_add_co_u32 v16, vcc_lo, 0x1000, v12
	v_add_co_ci_u32_e32 v17, vcc_lo, 0, v13, vcc_lo
	s_clause 0x5
	global_load_dwordx4 v[0:3], v[0:1], off offset:1008
	global_load_dwordx4 v[4:7], v[8:9], off offset:32
	;; [unrolled: 1-line block ×6, first 2 shown]
	ds_read_b128 v[24:27], v41 offset:13200
	ds_read_b128 v[28:31], v41 offset:7920
	;; [unrolled: 1-line block ×6, first 2 shown]
	s_waitcnt vmcnt(5) lgkmcnt(4)
	v_mul_f64 v[64:65], v[2:3], v[30:31]
	s_waitcnt vmcnt(4) lgkmcnt(3)
	v_mul_f64 v[66:67], v[6:7], v[34:35]
	s_waitcnt vmcnt(3)
	v_mul_f64 v[62:63], v[8:9], v[26:27]
	v_mul_f64 v[26:27], v[10:11], v[26:27]
	;; [unrolled: 1-line block ×4, first 2 shown]
	s_waitcnt vmcnt(2) lgkmcnt(2)
	v_mul_f64 v[68:69], v[12:13], v[38:39]
	s_waitcnt vmcnt(1) lgkmcnt(1)
	v_mul_f64 v[70:71], v[18:19], v[44:45]
	v_mul_f64 v[44:45], v[16:17], v[44:45]
	s_waitcnt vmcnt(0) lgkmcnt(0)
	v_mul_f64 v[72:73], v[20:21], v[48:49]
	v_mul_f64 v[38:39], v[14:15], v[38:39]
	;; [unrolled: 1-line block ×3, first 2 shown]
	ds_read_b128 v[48:51], v41 offset:2640
	ds_read_b128 v[58:61], v41
	v_fma_f64 v[0:1], v[0:1], v[28:29], -v[64:65]
	v_fma_f64 v[4:5], v[4:5], v[32:33], -v[66:67]
	v_fma_f64 v[10:11], v[10:11], v[24:25], v[62:63]
	v_fma_f64 v[8:9], v[24:25], v[8:9], -v[26:27]
	v_fma_f64 v[2:3], v[28:29], v[2:3], v[30:31]
	v_fma_f64 v[6:7], v[32:33], v[6:7], v[34:35]
	;; [unrolled: 1-line block ×3, first 2 shown]
	v_fma_f64 v[16:17], v[16:17], v[42:43], -v[70:71]
	v_fma_f64 v[18:19], v[42:43], v[18:19], v[44:45]
	v_fma_f64 v[22:23], v[46:47], v[22:23], v[72:73]
	v_fma_f64 v[12:13], v[36:37], v[12:13], -v[38:39]
	v_fma_f64 v[20:21], v[20:21], v[46:47], -v[74:75]
	v_add_f64 v[4:5], v[0:1], -v[4:5]
	s_waitcnt lgkmcnt(1)
	v_add_f64 v[24:25], v[50:51], -v[10:11]
	v_add_f64 v[26:27], v[48:49], -v[8:9]
	;; [unrolled: 1-line block ×3, first 2 shown]
	s_waitcnt lgkmcnt(0)
	v_add_f64 v[28:29], v[60:61], -v[14:15]
	v_mul_lo_u32 v14, s3, v54
	v_mul_lo_u32 v15, s2, v55
	v_add_f64 v[8:9], v[18:19], -v[22:23]
	v_add_f64 v[30:31], v[58:59], -v[12:13]
	;; [unrolled: 1-line block ×3, first 2 shown]
	v_mad_u64_u32 v[12:13], null, s2, v54, 0
	v_mul_hi_u32 v20, 0x634c0635, v40
	v_lshlrev_b64 v[22:23], 4, v[56:57]
	v_add3_u32 v13, v13, v15, v14
	v_lshrrev_b32_e32 v41, 7, v20
	v_fma_f64 v[20:21], v[0:1], 2.0, -v[4:5]
	v_fma_f64 v[32:33], v[50:51], 2.0, -v[24:25]
	;; [unrolled: 1-line block ×3, first 2 shown]
	v_lshlrev_b64 v[0:1], 4, v[12:13]
	v_fma_f64 v[14:15], v[2:3], 2.0, -v[6:7]
	v_fma_f64 v[36:37], v[60:61], 2.0, -v[28:29]
	v_lshlrev_b64 v[2:3], 4, v[52:53]
	v_mad_u32_u24 v56, 0x3de, v41, v40
	v_fma_f64 v[18:19], v[18:19], 2.0, -v[8:9]
	v_fma_f64 v[38:39], v[58:59], 2.0, -v[30:31]
	v_fma_f64 v[16:17], v[16:17], 2.0, -v[10:11]
	v_add_co_u32 v0, vcc_lo, s10, v0
	v_add_co_ci_u32_e32 v1, vcc_lo, s11, v1, vcc_lo
	v_lshlrev_b64 v[40:41], 4, v[56:57]
	v_add_co_u32 v44, vcc_lo, v0, v2
	v_add_co_ci_u32_e32 v45, vcc_lo, v1, v3, vcc_lo
	v_add_f64 v[2:3], v[24:25], v[4:5]
	v_add_f64 v[0:1], v[26:27], -v[6:7]
	v_add_f64 v[6:7], v[28:29], v[10:11]
	v_add_f64 v[4:5], v[30:31], -v[8:9]
	v_add_f64 v[8:9], v[34:35], -v[20:21]
	v_add_co_u32 v42, vcc_lo, v44, v22
	v_add_f64 v[10:11], v[32:33], -v[14:15]
	v_add_co_ci_u32_e32 v43, vcc_lo, v45, v23, vcc_lo
	v_add_f64 v[14:15], v[36:37], -v[18:19]
	v_add_co_u32 v40, vcc_lo, v44, v40
	v_add_f64 v[12:13], v[38:39], -v[16:17]
	v_add_co_ci_u32_e32 v41, vcc_lo, v45, v41, vcc_lo
	v_add_co_u32 v44, vcc_lo, 0x1000, v42
	v_add_co_ci_u32_e32 v45, vcc_lo, 0, v43, vcc_lo
	v_add_co_u32 v46, vcc_lo, 0x2800, v42
	v_fma_f64 v[18:19], v[24:25], 2.0, -v[2:3]
	v_fma_f64 v[16:17], v[26:27], 2.0, -v[0:1]
	;; [unrolled: 1-line block ×5, first 2 shown]
	v_add_co_ci_u32_e32 v47, vcc_lo, 0, v43, vcc_lo
	v_fma_f64 v[26:27], v[32:33], 2.0, -v[10:11]
	v_add_co_u32 v32, vcc_lo, 0x3800, v42
	v_fma_f64 v[30:31], v[36:37], 2.0, -v[14:15]
	v_add_co_ci_u32_e32 v33, vcc_lo, 0, v43, vcc_lo
	v_fma_f64 v[28:29], v[38:39], 2.0, -v[12:13]
	v_add_co_u32 v34, vcc_lo, 0x1000, v40
	v_add_co_ci_u32_e32 v35, vcc_lo, 0, v41, vcc_lo
	v_add_co_u32 v36, vcc_lo, 0x2800, v40
	v_add_co_ci_u32_e32 v37, vcc_lo, 0, v41, vcc_lo
	v_add_co_u32 v38, vcc_lo, 0x3800, v40
	v_add_co_ci_u32_e32 v39, vcc_lo, 0, v41, vcc_lo
	global_store_dwordx4 v[32:33], v[4:7], off offset:1504
	global_store_dwordx4 v[44:45], v[20:23], off offset:1184
	;; [unrolled: 1-line block ×5, first 2 shown]
	global_store_dwordx4 v[42:43], v[28:31], off
	global_store_dwordx4 v[40:41], v[24:27], off
	global_store_dwordx4 v[38:39], v[0:3], off offset:1504
.LBB0_23:
	s_endpgm
	.section	.rodata,"a",@progbits
	.p2align	6, 0x0
	.amdhsa_kernel fft_rtc_fwd_len1320_factors_11_2_3_5_4_wgs_165_tpt_165_dp_op_CI_CI_unitstride_sbrr_dirReg
		.amdhsa_group_segment_fixed_size 0
		.amdhsa_private_segment_fixed_size 0
		.amdhsa_kernarg_size 104
		.amdhsa_user_sgpr_count 6
		.amdhsa_user_sgpr_private_segment_buffer 1
		.amdhsa_user_sgpr_dispatch_ptr 0
		.amdhsa_user_sgpr_queue_ptr 0
		.amdhsa_user_sgpr_kernarg_segment_ptr 1
		.amdhsa_user_sgpr_dispatch_id 0
		.amdhsa_user_sgpr_flat_scratch_init 0
		.amdhsa_user_sgpr_private_segment_size 0
		.amdhsa_wavefront_size32 1
		.amdhsa_uses_dynamic_stack 0
		.amdhsa_system_sgpr_private_segment_wavefront_offset 0
		.amdhsa_system_sgpr_workgroup_id_x 1
		.amdhsa_system_sgpr_workgroup_id_y 0
		.amdhsa_system_sgpr_workgroup_id_z 0
		.amdhsa_system_sgpr_workgroup_info 0
		.amdhsa_system_vgpr_workitem_id 0
		.amdhsa_next_free_vgpr 159
		.amdhsa_next_free_sgpr 36
		.amdhsa_reserve_vcc 1
		.amdhsa_reserve_flat_scratch 0
		.amdhsa_float_round_mode_32 0
		.amdhsa_float_round_mode_16_64 0
		.amdhsa_float_denorm_mode_32 3
		.amdhsa_float_denorm_mode_16_64 3
		.amdhsa_dx10_clamp 1
		.amdhsa_ieee_mode 1
		.amdhsa_fp16_overflow 0
		.amdhsa_workgroup_processor_mode 1
		.amdhsa_memory_ordered 1
		.amdhsa_forward_progress 0
		.amdhsa_shared_vgpr_count 0
		.amdhsa_exception_fp_ieee_invalid_op 0
		.amdhsa_exception_fp_denorm_src 0
		.amdhsa_exception_fp_ieee_div_zero 0
		.amdhsa_exception_fp_ieee_overflow 0
		.amdhsa_exception_fp_ieee_underflow 0
		.amdhsa_exception_fp_ieee_inexact 0
		.amdhsa_exception_int_div_zero 0
	.end_amdhsa_kernel
	.text
.Lfunc_end0:
	.size	fft_rtc_fwd_len1320_factors_11_2_3_5_4_wgs_165_tpt_165_dp_op_CI_CI_unitstride_sbrr_dirReg, .Lfunc_end0-fft_rtc_fwd_len1320_factors_11_2_3_5_4_wgs_165_tpt_165_dp_op_CI_CI_unitstride_sbrr_dirReg
                                        ; -- End function
	.section	.AMDGPU.csdata,"",@progbits
; Kernel info:
; codeLenInByte = 8976
; NumSgprs: 38
; NumVgprs: 159
; ScratchSize: 0
; MemoryBound: 1
; FloatMode: 240
; IeeeMode: 1
; LDSByteSize: 0 bytes/workgroup (compile time only)
; SGPRBlocks: 4
; VGPRBlocks: 19
; NumSGPRsForWavesPerEU: 38
; NumVGPRsForWavesPerEU: 159
; Occupancy: 6
; WaveLimiterHint : 1
; COMPUTE_PGM_RSRC2:SCRATCH_EN: 0
; COMPUTE_PGM_RSRC2:USER_SGPR: 6
; COMPUTE_PGM_RSRC2:TRAP_HANDLER: 0
; COMPUTE_PGM_RSRC2:TGID_X_EN: 1
; COMPUTE_PGM_RSRC2:TGID_Y_EN: 0
; COMPUTE_PGM_RSRC2:TGID_Z_EN: 0
; COMPUTE_PGM_RSRC2:TIDIG_COMP_CNT: 0
	.text
	.p2alignl 6, 3214868480
	.fill 48, 4, 3214868480
	.type	__hip_cuid_6ef758ec8ad0c44,@object ; @__hip_cuid_6ef758ec8ad0c44
	.section	.bss,"aw",@nobits
	.globl	__hip_cuid_6ef758ec8ad0c44
__hip_cuid_6ef758ec8ad0c44:
	.byte	0                               ; 0x0
	.size	__hip_cuid_6ef758ec8ad0c44, 1

	.ident	"AMD clang version 19.0.0git (https://github.com/RadeonOpenCompute/llvm-project roc-6.4.0 25133 c7fe45cf4b819c5991fe208aaa96edf142730f1d)"
	.section	".note.GNU-stack","",@progbits
	.addrsig
	.addrsig_sym __hip_cuid_6ef758ec8ad0c44
	.amdgpu_metadata
---
amdhsa.kernels:
  - .args:
      - .actual_access:  read_only
        .address_space:  global
        .offset:         0
        .size:           8
        .value_kind:     global_buffer
      - .offset:         8
        .size:           8
        .value_kind:     by_value
      - .actual_access:  read_only
        .address_space:  global
        .offset:         16
        .size:           8
        .value_kind:     global_buffer
      - .actual_access:  read_only
        .address_space:  global
        .offset:         24
        .size:           8
        .value_kind:     global_buffer
      - .actual_access:  read_only
        .address_space:  global
        .offset:         32
        .size:           8
        .value_kind:     global_buffer
      - .offset:         40
        .size:           8
        .value_kind:     by_value
      - .actual_access:  read_only
        .address_space:  global
        .offset:         48
        .size:           8
        .value_kind:     global_buffer
      - .actual_access:  read_only
        .address_space:  global
        .offset:         56
        .size:           8
        .value_kind:     global_buffer
      - .offset:         64
        .size:           4
        .value_kind:     by_value
      - .actual_access:  read_only
        .address_space:  global
        .offset:         72
        .size:           8
        .value_kind:     global_buffer
      - .actual_access:  read_only
        .address_space:  global
        .offset:         80
        .size:           8
        .value_kind:     global_buffer
      - .actual_access:  read_only
        .address_space:  global
        .offset:         88
        .size:           8
        .value_kind:     global_buffer
      - .actual_access:  write_only
        .address_space:  global
        .offset:         96
        .size:           8
        .value_kind:     global_buffer
    .group_segment_fixed_size: 0
    .kernarg_segment_align: 8
    .kernarg_segment_size: 104
    .language:       OpenCL C
    .language_version:
      - 2
      - 0
    .max_flat_workgroup_size: 165
    .name:           fft_rtc_fwd_len1320_factors_11_2_3_5_4_wgs_165_tpt_165_dp_op_CI_CI_unitstride_sbrr_dirReg
    .private_segment_fixed_size: 0
    .sgpr_count:     38
    .sgpr_spill_count: 0
    .symbol:         fft_rtc_fwd_len1320_factors_11_2_3_5_4_wgs_165_tpt_165_dp_op_CI_CI_unitstride_sbrr_dirReg.kd
    .uniform_work_group_size: 1
    .uses_dynamic_stack: false
    .vgpr_count:     159
    .vgpr_spill_count: 0
    .wavefront_size: 32
    .workgroup_processor_mode: 1
amdhsa.target:   amdgcn-amd-amdhsa--gfx1030
amdhsa.version:
  - 1
  - 2
...

	.end_amdgpu_metadata
